;; amdgpu-corpus repo=ROCm/rocFFT kind=compiled arch=gfx906 opt=O3
	.text
	.amdgcn_target "amdgcn-amd-amdhsa--gfx906"
	.amdhsa_code_object_version 6
	.protected	fft_rtc_back_len1568_factors_2_2_2_2_2_7_7_wgs_224_tpt_224_halfLds_dp_op_CI_CI_unitstride_sbrr_dirReg ; -- Begin function fft_rtc_back_len1568_factors_2_2_2_2_2_7_7_wgs_224_tpt_224_halfLds_dp_op_CI_CI_unitstride_sbrr_dirReg
	.globl	fft_rtc_back_len1568_factors_2_2_2_2_2_7_7_wgs_224_tpt_224_halfLds_dp_op_CI_CI_unitstride_sbrr_dirReg
	.p2align	8
	.type	fft_rtc_back_len1568_factors_2_2_2_2_2_7_7_wgs_224_tpt_224_halfLds_dp_op_CI_CI_unitstride_sbrr_dirReg,@function
fft_rtc_back_len1568_factors_2_2_2_2_2_7_7_wgs_224_tpt_224_halfLds_dp_op_CI_CI_unitstride_sbrr_dirReg: ; @fft_rtc_back_len1568_factors_2_2_2_2_2_7_7_wgs_224_tpt_224_halfLds_dp_op_CI_CI_unitstride_sbrr_dirReg
; %bb.0:
	s_load_dwordx4 s[8:11], s[4:5], 0x58
	s_load_dwordx4 s[12:15], s[4:5], 0x0
	;; [unrolled: 1-line block ×3, first 2 shown]
	v_mul_u32_u24_e32 v1, 0x125, v0
	v_add_u32_sdwa v5, s6, v1 dst_sel:DWORD dst_unused:UNUSED_PAD src0_sel:DWORD src1_sel:WORD_1
	v_mov_b32_e32 v3, 0
	s_waitcnt lgkmcnt(0)
	v_cmp_lt_u64_e64 s[0:1], s[14:15], 2
	v_mov_b32_e32 v1, 0
	v_mov_b32_e32 v6, v3
	s_and_b64 vcc, exec, s[0:1]
	v_mov_b32_e32 v2, 0
	s_cbranch_vccnz .LBB0_8
; %bb.1:
	s_load_dwordx2 s[0:1], s[4:5], 0x10
	s_add_u32 s2, s18, 8
	s_addc_u32 s3, s19, 0
	s_add_u32 s6, s16, 8
	v_mov_b32_e32 v1, 0
	s_addc_u32 s7, s17, 0
	v_mov_b32_e32 v2, 0
	s_waitcnt lgkmcnt(0)
	s_add_u32 s20, s0, 8
	v_mov_b32_e32 v41, v2
	s_addc_u32 s21, s1, 0
	s_mov_b64 s[22:23], 1
	v_mov_b32_e32 v40, v1
.LBB0_2:                                ; =>This Inner Loop Header: Depth=1
	s_load_dwordx2 s[24:25], s[20:21], 0x0
                                        ; implicit-def: $vgpr42_vgpr43
	s_waitcnt lgkmcnt(0)
	v_or_b32_e32 v4, s25, v6
	v_cmp_ne_u64_e32 vcc, 0, v[3:4]
	s_and_saveexec_b64 s[0:1], vcc
	s_xor_b64 s[26:27], exec, s[0:1]
	s_cbranch_execz .LBB0_4
; %bb.3:                                ;   in Loop: Header=BB0_2 Depth=1
	v_cvt_f32_u32_e32 v4, s24
	v_cvt_f32_u32_e32 v7, s25
	s_sub_u32 s0, 0, s24
	s_subb_u32 s1, 0, s25
	v_mac_f32_e32 v4, 0x4f800000, v7
	v_rcp_f32_e32 v4, v4
	v_mul_f32_e32 v4, 0x5f7ffffc, v4
	v_mul_f32_e32 v7, 0x2f800000, v4
	v_trunc_f32_e32 v7, v7
	v_mac_f32_e32 v4, 0xcf800000, v7
	v_cvt_u32_f32_e32 v7, v7
	v_cvt_u32_f32_e32 v4, v4
	v_mul_lo_u32 v8, s0, v7
	v_mul_hi_u32 v9, s0, v4
	v_mul_lo_u32 v11, s1, v4
	v_mul_lo_u32 v10, s0, v4
	v_add_u32_e32 v8, v9, v8
	v_add_u32_e32 v8, v8, v11
	v_mul_hi_u32 v9, v4, v10
	v_mul_lo_u32 v11, v4, v8
	v_mul_hi_u32 v13, v4, v8
	v_mul_hi_u32 v12, v7, v10
	v_mul_lo_u32 v10, v7, v10
	v_mul_hi_u32 v14, v7, v8
	v_add_co_u32_e32 v9, vcc, v9, v11
	v_addc_co_u32_e32 v11, vcc, 0, v13, vcc
	v_mul_lo_u32 v8, v7, v8
	v_add_co_u32_e32 v9, vcc, v9, v10
	v_addc_co_u32_e32 v9, vcc, v11, v12, vcc
	v_addc_co_u32_e32 v10, vcc, 0, v14, vcc
	v_add_co_u32_e32 v8, vcc, v9, v8
	v_addc_co_u32_e32 v9, vcc, 0, v10, vcc
	v_add_co_u32_e32 v4, vcc, v4, v8
	v_addc_co_u32_e32 v7, vcc, v7, v9, vcc
	v_mul_lo_u32 v8, s0, v7
	v_mul_hi_u32 v9, s0, v4
	v_mul_lo_u32 v10, s1, v4
	v_mul_lo_u32 v11, s0, v4
	v_add_u32_e32 v8, v9, v8
	v_add_u32_e32 v8, v8, v10
	v_mul_lo_u32 v12, v4, v8
	v_mul_hi_u32 v13, v4, v11
	v_mul_hi_u32 v14, v4, v8
	v_mul_hi_u32 v10, v7, v11
	v_mul_lo_u32 v11, v7, v11
	v_mul_hi_u32 v9, v7, v8
	v_add_co_u32_e32 v12, vcc, v13, v12
	v_addc_co_u32_e32 v13, vcc, 0, v14, vcc
	v_mul_lo_u32 v8, v7, v8
	v_add_co_u32_e32 v11, vcc, v12, v11
	v_addc_co_u32_e32 v10, vcc, v13, v10, vcc
	v_addc_co_u32_e32 v9, vcc, 0, v9, vcc
	v_add_co_u32_e32 v8, vcc, v10, v8
	v_addc_co_u32_e32 v9, vcc, 0, v9, vcc
	v_add_co_u32_e32 v4, vcc, v4, v8
	v_addc_co_u32_e32 v9, vcc, v7, v9, vcc
	v_mad_u64_u32 v[7:8], s[0:1], v5, v9, 0
	v_mul_hi_u32 v10, v5, v4
	v_add_co_u32_e32 v11, vcc, v10, v7
	v_addc_co_u32_e32 v12, vcc, 0, v8, vcc
	v_mad_u64_u32 v[7:8], s[0:1], v6, v4, 0
	v_mad_u64_u32 v[9:10], s[0:1], v6, v9, 0
	v_add_co_u32_e32 v4, vcc, v11, v7
	v_addc_co_u32_e32 v4, vcc, v12, v8, vcc
	v_addc_co_u32_e32 v7, vcc, 0, v10, vcc
	v_add_co_u32_e32 v4, vcc, v4, v9
	v_addc_co_u32_e32 v9, vcc, 0, v7, vcc
	v_mul_lo_u32 v10, s25, v4
	v_mul_lo_u32 v11, s24, v9
	v_mad_u64_u32 v[7:8], s[0:1], s24, v4, 0
	v_add3_u32 v8, v8, v11, v10
	v_sub_u32_e32 v10, v6, v8
	v_mov_b32_e32 v11, s25
	v_sub_co_u32_e32 v7, vcc, v5, v7
	v_subb_co_u32_e64 v10, s[0:1], v10, v11, vcc
	v_subrev_co_u32_e64 v11, s[0:1], s24, v7
	v_subbrev_co_u32_e64 v10, s[0:1], 0, v10, s[0:1]
	v_cmp_le_u32_e64 s[0:1], s25, v10
	v_cndmask_b32_e64 v12, 0, -1, s[0:1]
	v_cmp_le_u32_e64 s[0:1], s24, v11
	v_cndmask_b32_e64 v11, 0, -1, s[0:1]
	v_cmp_eq_u32_e64 s[0:1], s25, v10
	v_cndmask_b32_e64 v10, v12, v11, s[0:1]
	v_add_co_u32_e64 v11, s[0:1], 2, v4
	v_addc_co_u32_e64 v12, s[0:1], 0, v9, s[0:1]
	v_add_co_u32_e64 v13, s[0:1], 1, v4
	v_addc_co_u32_e64 v14, s[0:1], 0, v9, s[0:1]
	v_subb_co_u32_e32 v8, vcc, v6, v8, vcc
	v_cmp_ne_u32_e64 s[0:1], 0, v10
	v_cmp_le_u32_e32 vcc, s25, v8
	v_cndmask_b32_e64 v10, v14, v12, s[0:1]
	v_cndmask_b32_e64 v12, 0, -1, vcc
	v_cmp_le_u32_e32 vcc, s24, v7
	v_cndmask_b32_e64 v7, 0, -1, vcc
	v_cmp_eq_u32_e32 vcc, s25, v8
	v_cndmask_b32_e32 v7, v12, v7, vcc
	v_cmp_ne_u32_e32 vcc, 0, v7
	v_cndmask_b32_e64 v7, v13, v11, s[0:1]
	v_cndmask_b32_e32 v43, v9, v10, vcc
	v_cndmask_b32_e32 v42, v4, v7, vcc
.LBB0_4:                                ;   in Loop: Header=BB0_2 Depth=1
	s_andn2_saveexec_b64 s[0:1], s[26:27]
	s_cbranch_execz .LBB0_6
; %bb.5:                                ;   in Loop: Header=BB0_2 Depth=1
	v_cvt_f32_u32_e32 v4, s24
	s_sub_i32 s26, 0, s24
	v_mov_b32_e32 v43, v3
	v_rcp_iflag_f32_e32 v4, v4
	v_mul_f32_e32 v4, 0x4f7ffffe, v4
	v_cvt_u32_f32_e32 v4, v4
	v_mul_lo_u32 v7, s26, v4
	v_mul_hi_u32 v7, v4, v7
	v_add_u32_e32 v4, v4, v7
	v_mul_hi_u32 v4, v5, v4
	v_mul_lo_u32 v7, v4, s24
	v_add_u32_e32 v8, 1, v4
	v_sub_u32_e32 v7, v5, v7
	v_subrev_u32_e32 v9, s24, v7
	v_cmp_le_u32_e32 vcc, s24, v7
	v_cndmask_b32_e32 v7, v7, v9, vcc
	v_cndmask_b32_e32 v4, v4, v8, vcc
	v_add_u32_e32 v8, 1, v4
	v_cmp_le_u32_e32 vcc, s24, v7
	v_cndmask_b32_e32 v42, v4, v8, vcc
.LBB0_6:                                ;   in Loop: Header=BB0_2 Depth=1
	s_or_b64 exec, exec, s[0:1]
	v_mul_lo_u32 v4, v43, s24
	v_mul_lo_u32 v9, v42, s25
	v_mad_u64_u32 v[7:8], s[0:1], v42, s24, 0
	s_load_dwordx2 s[0:1], s[6:7], 0x0
	s_load_dwordx2 s[24:25], s[2:3], 0x0
	v_add3_u32 v4, v8, v9, v4
	v_sub_co_u32_e32 v5, vcc, v5, v7
	v_subb_co_u32_e32 v4, vcc, v6, v4, vcc
	s_waitcnt lgkmcnt(0)
	v_mul_lo_u32 v6, s0, v4
	v_mul_lo_u32 v7, s1, v5
	v_mad_u64_u32 v[1:2], s[0:1], s0, v5, v[1:2]
	v_mul_lo_u32 v4, s24, v4
	v_mul_lo_u32 v8, s25, v5
	v_mad_u64_u32 v[40:41], s[0:1], s24, v5, v[40:41]
	s_add_u32 s22, s22, 1
	s_addc_u32 s23, s23, 0
	s_add_u32 s2, s2, 8
	v_add3_u32 v41, v8, v41, v4
	s_addc_u32 s3, s3, 0
	v_mov_b32_e32 v4, s14
	s_add_u32 s6, s6, 8
	v_mov_b32_e32 v5, s15
	s_addc_u32 s7, s7, 0
	v_cmp_ge_u64_e32 vcc, s[22:23], v[4:5]
	s_add_u32 s20, s20, 8
	v_add3_u32 v2, v7, v2, v6
	s_addc_u32 s21, s21, 0
	s_cbranch_vccnz .LBB0_9
; %bb.7:                                ;   in Loop: Header=BB0_2 Depth=1
	v_mov_b32_e32 v5, v42
	v_mov_b32_e32 v6, v43
	s_branch .LBB0_2
.LBB0_8:
	v_mov_b32_e32 v41, v2
	v_mov_b32_e32 v43, v6
	;; [unrolled: 1-line block ×4, first 2 shown]
.LBB0_9:
	s_load_dwordx2 s[4:5], s[4:5], 0x28
	s_lshl_b64 s[6:7], s[14:15], 3
	s_add_u32 s2, s18, s6
	s_addc_u32 s3, s19, s7
                                        ; implicit-def: $sgpr14
                                        ; implicit-def: $vgpr53
	s_waitcnt lgkmcnt(0)
	v_cmp_gt_u64_e64 s[0:1], s[4:5], v[42:43]
	v_cmp_le_u64_e32 vcc, s[4:5], v[42:43]
	s_and_saveexec_b64 s[4:5], vcc
	s_xor_b64 s[4:5], exec, s[4:5]
; %bb.10:
	s_mov_b32 s14, 0x124924a
	v_mul_hi_u32 v1, v0, s14
	s_mov_b32 s14, 0
	v_mul_u32_u24_e32 v1, 0xe0, v1
	v_sub_u32_e32 v53, v0, v1
                                        ; implicit-def: $vgpr0
                                        ; implicit-def: $vgpr1_vgpr2
; %bb.11:
	s_or_saveexec_b64 s[4:5], s[4:5]
	s_load_dwordx2 s[2:3], s[2:3], 0x0
	v_mov_b32_e32 v44, s14
                                        ; implicit-def: $vgpr34_vgpr35
                                        ; implicit-def: $vgpr30_vgpr31
                                        ; implicit-def: $vgpr16_vgpr17
                                        ; implicit-def: $vgpr12_vgpr13
                                        ; implicit-def: $vgpr8_vgpr9
                                        ; implicit-def: $vgpr20_vgpr21
                                        ; implicit-def: $vgpr4_vgpr5
                                        ; implicit-def: $vgpr24_vgpr25
	s_xor_b64 exec, exec, s[4:5]
	s_cbranch_execz .LBB0_15
; %bb.12:
	s_add_u32 s6, s16, s6
	s_addc_u32 s7, s17, s7
	s_load_dwordx2 s[6:7], s[6:7], 0x0
	s_mov_b32 s14, 0x124924a
	v_mul_hi_u32 v5, v0, s14
                                        ; implicit-def: $vgpr32_vgpr33
	s_waitcnt lgkmcnt(0)
	v_mul_lo_u32 v6, s7, v42
	v_mul_lo_u32 v7, s6, v43
	v_mad_u64_u32 v[3:4], s[6:7], s6, v42, 0
	v_mul_u32_u24_e32 v5, 0xe0, v5
	v_sub_u32_e32 v53, v0, v5
	v_add3_u32 v4, v4, v7, v6
	v_lshlrev_b64 v[3:4], 4, v[3:4]
	v_mov_b32_e32 v0, s9
	v_add_co_u32_e32 v3, vcc, s8, v3
	v_addc_co_u32_e32 v4, vcc, v0, v4, vcc
	v_lshlrev_b64 v[0:1], 4, v[1:2]
	v_lshlrev_b32_e32 v2, 4, v53
	v_add_co_u32_e32 v0, vcc, v3, v0
	v_addc_co_u32_e32 v1, vcc, v4, v1, vcc
	v_add_co_u32_e32 v0, vcc, v0, v2
	v_addc_co_u32_e32 v1, vcc, 0, v1, vcc
	s_movk_i32 s6, 0x3000
	v_add_co_u32_e32 v10, vcc, s6, v0
	v_addc_co_u32_e32 v11, vcc, 0, v1, vcc
	s_movk_i32 s6, 0x1000
	v_add_co_u32_e32 v26, vcc, s6, v0
	v_addc_co_u32_e32 v27, vcc, 0, v1, vcc
	v_add_co_u32_e32 v28, vcc, 0x4000, v0
	global_load_dwordx4 v[2:5], v[10:11], off offset:256
	global_load_dwordx4 v[6:9], v[10:11], off offset:3840
	v_addc_co_u32_e32 v29, vcc, 0, v1, vcc
	global_load_dwordx4 v[10:13], v[26:27], off offset:3072
	global_load_dwordx4 v[14:17], v[28:29], off offset:3328
	global_load_dwordx4 v[22:25], v[0:1], off
	global_load_dwordx4 v[18:21], v[0:1], off offset:3584
	s_movk_i32 s6, 0x70
	v_cmp_gt_u32_e32 vcc, s6, v53
                                        ; implicit-def: $vgpr28_vgpr29
	s_and_saveexec_b64 s[6:7], vcc
	s_cbranch_execz .LBB0_14
; %bb.13:
	v_add_co_u32_e32 v26, vcc, 0x2000, v0
	v_addc_co_u32_e32 v27, vcc, 0, v1, vcc
	v_add_co_u32_e32 v0, vcc, 0x5000, v0
	v_addc_co_u32_e32 v1, vcc, 0, v1, vcc
	global_load_dwordx4 v[28:31], v[26:27], off offset:2560
	global_load_dwordx4 v[32:35], v[0:1], off offset:2816
.LBB0_14:
	s_or_b64 exec, exec, s[6:7]
	v_mov_b32_e32 v44, v53
.LBB0_15:
	s_or_b64 exec, exec, s[4:5]
	s_waitcnt vmcnt(1)
	v_add_f64 v[38:39], v[22:23], -v[2:3]
	s_waitcnt vmcnt(0)
	v_add_f64 v[2:3], v[28:29], -v[32:33]
	v_add_f64 v[47:48], v[18:19], -v[6:7]
	;; [unrolled: 1-line block ×3, first 2 shown]
	v_add_u32_e32 v33, 0xe0, v53
	s_movk_i32 s4, 0x70
	v_add_u32_e32 v32, 0x2a0, v53
	v_lshl_add_u32 v14, v53, 4, 0
	v_fma_f64 v[36:37], v[22:23], 2.0, -v[38:39]
	v_fma_f64 v[0:1], v[28:29], 2.0, -v[2:3]
	;; [unrolled: 1-line block ×4, first 2 shown]
	v_add_u32_e32 v22, 0x1c0, v53
	v_lshl_add_u32 v19, v33, 4, 0
	v_lshl_add_u32 v18, v22, 4, 0
	v_cmp_gt_u32_e32 vcc, s4, v53
	v_lshl_add_u32 v15, v32, 4, 0
	ds_write_b128 v14, v[36:39]
	ds_write_b128 v19, v[45:48]
	;; [unrolled: 1-line block ×3, first 2 shown]
	s_and_saveexec_b64 s[4:5], vcc
	s_cbranch_execz .LBB0_17
; %bb.16:
	ds_write_b128 v15, v[0:3]
.LBB0_17:
	s_or_b64 exec, exec, s[4:5]
	v_lshlrev_b32_e32 v6, 3, v53
	v_sub_u32_e32 v54, v14, v6
	v_add_u32_e32 v6, 0x1800, v54
	s_waitcnt lgkmcnt(0)
	s_barrier
	ds_read2_b64 v[36:39], v54 offset1:224
	ds_read2_b64 v[26:29], v6 offset0:16 offset1:240
	ds_read_b64 v[10:11], v54 offset:3584
	ds_read_b64 v[45:46], v54 offset:9856
	s_and_saveexec_b64 s[4:5], vcc
	s_cbranch_execz .LBB0_19
; %bb.18:
	ds_read_b64 v[0:1], v54 offset:5376
	ds_read_b64 v[2:3], v54 offset:11648
.LBB0_19:
	s_or_b64 exec, exec, s[4:5]
	v_add_f64 v[49:50], v[24:25], -v[4:5]
	v_add_f64 v[6:7], v[30:31], -v[34:35]
	;; [unrolled: 1-line block ×4, first 2 shown]
	s_waitcnt lgkmcnt(0)
	s_barrier
	v_fma_f64 v[47:48], v[24:25], 2.0, -v[49:50]
	v_fma_f64 v[4:5], v[30:31], 2.0, -v[6:7]
	;; [unrolled: 1-line block ×4, first 2 shown]
	ds_write_b128 v14, v[47:50]
	ds_write_b128 v19, v[55:58]
	;; [unrolled: 1-line block ×3, first 2 shown]
	s_and_saveexec_b64 s[4:5], vcc
	s_cbranch_execz .LBB0_21
; %bb.20:
	ds_write_b128 v15, v[4:7]
.LBB0_21:
	s_or_b64 exec, exec, s[4:5]
	v_add_u32_e32 v8, 0x1800, v54
	s_waitcnt lgkmcnt(0)
	s_barrier
	ds_read2_b64 v[12:15], v54 offset1:224
	ds_read2_b64 v[16:19], v8 offset0:16 offset1:240
	ds_read_b64 v[47:48], v54 offset:3584
	ds_read_b64 v[49:50], v54 offset:9856
	v_lshlrev_b32_e32 v55, 1, v53
	v_lshlrev_b32_e32 v56, 1, v33
	;; [unrolled: 1-line block ×3, first 2 shown]
	s_and_saveexec_b64 s[4:5], vcc
	s_cbranch_execz .LBB0_23
; %bb.22:
	ds_read_b64 v[4:5], v54 offset:5376
	ds_read_b64 v[6:7], v54 offset:11648
.LBB0_23:
	s_or_b64 exec, exec, s[4:5]
	v_and_b32_e32 v59, 1, v53
	v_lshlrev_b32_e32 v8, 4, v59
	global_load_dwordx4 v[20:23], v8, s[12:13]
	s_movk_i32 s4, 0x1fc
	s_movk_i32 s5, 0x3fc
	;; [unrolled: 1-line block ×3, first 2 shown]
	v_and_or_b32 v58, v55, s4, v59
	v_and_or_b32 v61, v56, s5, v59
	;; [unrolled: 1-line block ×3, first 2 shown]
	v_lshl_add_u32 v60, v58, 3, 0
	v_lshl_add_u32 v61, v61, 3, 0
	;; [unrolled: 1-line block ×3, first 2 shown]
	v_lshlrev_b32_e32 v58, 1, v32
	s_waitcnt vmcnt(0) lgkmcnt(0)
	s_barrier
	v_mul_f64 v[8:9], v[16:17], v[22:23]
	v_mul_f64 v[24:25], v[18:19], v[22:23]
	;; [unrolled: 1-line block ×4, first 2 shown]
	v_fma_f64 v[8:9], v[26:27], v[20:21], v[8:9]
	v_fma_f64 v[24:25], v[28:29], v[20:21], v[24:25]
	;; [unrolled: 1-line block ×4, first 2 shown]
	v_add_f64 v[8:9], v[36:37], -v[8:9]
	v_add_f64 v[51:52], v[38:39], -v[24:25]
	v_add_f64 v[24:25], v[0:1], -v[33:34]
	v_add_f64 v[30:31], v[10:11], -v[30:31]
	v_fma_f64 v[33:34], v[36:37], 2.0, -v[8:9]
	v_fma_f64 v[35:36], v[38:39], 2.0, -v[51:52]
	;; [unrolled: 1-line block ×4, first 2 shown]
	ds_write2_b64 v60, v[33:34], v[8:9] offset1:2
	ds_write2_b64 v61, v[35:36], v[51:52] offset1:2
	;; [unrolled: 1-line block ×3, first 2 shown]
	s_and_saveexec_b64 s[4:5], vcc
	s_cbranch_execz .LBB0_25
; %bb.24:
	v_and_or_b32 v8, v58, s6, v59
	v_lshl_add_u32 v8, v8, 3, 0
	ds_write2_b64 v8, v[0:1], v[24:25] offset1:2
.LBB0_25:
	s_or_b64 exec, exec, s[4:5]
	v_add_u32_e32 v8, 0x1800, v54
	s_waitcnt lgkmcnt(0)
	s_barrier
	ds_read2_b64 v[30:33], v54 offset1:224
	ds_read2_b64 v[8:11], v8 offset0:16 offset1:240
	ds_read_b64 v[51:52], v54 offset:3584
	ds_read_b64 v[34:35], v54 offset:9856
	s_and_saveexec_b64 s[4:5], vcc
	s_cbranch_execz .LBB0_27
; %bb.26:
	ds_read_b64 v[0:1], v54 offset:5376
	ds_read_b64 v[24:25], v54 offset:11648
.LBB0_27:
	s_or_b64 exec, exec, s[4:5]
	v_mul_f64 v[26:27], v[26:27], v[22:23]
	v_mul_f64 v[2:3], v[2:3], v[22:23]
	;; [unrolled: 1-line block ×4, first 2 shown]
	s_waitcnt lgkmcnt(0)
	s_barrier
	v_fma_f64 v[16:17], v[16:17], v[20:21], -v[26:27]
	v_fma_f64 v[2:3], v[6:7], v[20:21], -v[2:3]
	v_fma_f64 v[18:19], v[18:19], v[20:21], -v[28:29]
	v_fma_f64 v[22:23], v[49:50], v[20:21], -v[36:37]
	v_add_f64 v[6:7], v[12:13], -v[16:17]
	v_add_f64 v[38:39], v[4:5], -v[2:3]
	;; [unrolled: 1-line block ×4, first 2 shown]
	v_fma_f64 v[2:3], v[12:13], 2.0, -v[6:7]
	v_fma_f64 v[36:37], v[4:5], 2.0, -v[38:39]
	;; [unrolled: 1-line block ×4, first 2 shown]
	ds_write2_b64 v60, v[2:3], v[6:7] offset1:2
	ds_write2_b64 v61, v[12:13], v[16:17] offset1:2
	;; [unrolled: 1-line block ×3, first 2 shown]
	s_and_saveexec_b64 s[4:5], vcc
	s_cbranch_execz .LBB0_29
; %bb.28:
	v_and_or_b32 v2, v58, s6, v59
	v_lshl_add_u32 v2, v2, 3, 0
	ds_write2_b64 v2, v[36:37], v[38:39] offset1:2
.LBB0_29:
	s_or_b64 exec, exec, s[4:5]
	v_add_u32_e32 v2, 0x1800, v54
	s_waitcnt lgkmcnt(0)
	s_barrier
	ds_read2_b64 v[4:7], v54 offset1:224
	ds_read2_b64 v[16:19], v2 offset0:16 offset1:240
	ds_read_b64 v[45:46], v54 offset:3584
	ds_read_b64 v[49:50], v54 offset:9856
	s_and_saveexec_b64 s[4:5], vcc
	s_cbranch_execz .LBB0_31
; %bb.30:
	ds_read_b64 v[36:37], v54 offset:5376
	ds_read_b64 v[38:39], v54 offset:11648
.LBB0_31:
	s_or_b64 exec, exec, s[4:5]
	v_and_b32_e32 v59, 3, v53
	v_lshlrev_b32_e32 v2, 4, v59
	global_load_dwordx4 v[20:23], v2, s[12:13] offset:32
	s_movk_i32 s4, 0x1f8
	s_movk_i32 s5, 0x3f8
	s_movk_i32 s6, 0x7f8
	v_and_or_b32 v60, v55, s4, v59
	v_and_or_b32 v61, v56, s5, v59
	;; [unrolled: 1-line block ×3, first 2 shown]
	s_waitcnt vmcnt(0) lgkmcnt(0)
	s_barrier
	v_mul_f64 v[2:3], v[16:17], v[22:23]
	v_mul_f64 v[26:27], v[38:39], v[22:23]
	;; [unrolled: 1-line block ×4, first 2 shown]
	v_fma_f64 v[2:3], v[8:9], v[20:21], v[2:3]
	v_fma_f64 v[26:27], v[24:25], v[20:21], v[26:27]
	;; [unrolled: 1-line block ×4, first 2 shown]
	v_add_f64 v[2:3], v[30:31], -v[2:3]
	v_add_f64 v[26:27], v[0:1], -v[26:27]
	;; [unrolled: 1-line block ×4, first 2 shown]
	v_fma_f64 v[28:29], v[30:31], 2.0, -v[2:3]
	v_fma_f64 v[30:31], v[0:1], 2.0, -v[26:27]
	;; [unrolled: 1-line block ×4, first 2 shown]
	v_lshl_add_u32 v52, v60, 3, 0
	v_lshl_add_u32 v60, v61, 3, 0
	;; [unrolled: 1-line block ×3, first 2 shown]
	ds_write2_b64 v52, v[28:29], v[2:3] offset1:4
	ds_write2_b64 v60, v[32:33], v[12:13] offset1:4
	;; [unrolled: 1-line block ×3, first 2 shown]
	s_and_saveexec_b64 s[4:5], vcc
	s_cbranch_execz .LBB0_33
; %bb.32:
	v_and_or_b32 v0, v58, s6, v59
	v_lshl_add_u32 v0, v0, 3, 0
	ds_write2_b64 v0, v[30:31], v[26:27] offset1:4
.LBB0_33:
	s_or_b64 exec, exec, s[4:5]
	v_add_u32_e32 v0, 0x1800, v54
	s_waitcnt lgkmcnt(0)
	s_barrier
	ds_read2_b64 v[12:15], v54 offset1:224
	ds_read2_b64 v[0:3], v0 offset0:16 offset1:240
	ds_read_b64 v[47:48], v54 offset:3584
	ds_read_b64 v[28:29], v54 offset:9856
	v_lshl_add_u32 v51, v53, 3, 0
	s_and_saveexec_b64 s[4:5], vcc
	s_cbranch_execz .LBB0_35
; %bb.34:
	ds_read_b64 v[30:31], v51 offset:5376
	ds_read_b64 v[26:27], v54 offset:11648
.LBB0_35:
	s_or_b64 exec, exec, s[4:5]
	v_mul_f64 v[8:9], v[8:9], v[22:23]
	v_mul_f64 v[10:11], v[10:11], v[22:23]
	;; [unrolled: 1-line block ×4, first 2 shown]
	s_waitcnt lgkmcnt(0)
	s_barrier
	v_fma_f64 v[8:9], v[16:17], v[20:21], -v[8:9]
	v_fma_f64 v[10:11], v[18:19], v[20:21], -v[10:11]
	;; [unrolled: 1-line block ×4, first 2 shown]
	v_add_f64 v[8:9], v[4:5], -v[8:9]
	v_add_f64 v[10:11], v[6:7], -v[10:11]
	;; [unrolled: 1-line block ×4, first 2 shown]
	v_fma_f64 v[4:5], v[4:5], 2.0, -v[8:9]
	v_fma_f64 v[6:7], v[6:7], 2.0, -v[10:11]
	;; [unrolled: 1-line block ×4, first 2 shown]
	ds_write2_b64 v52, v[4:5], v[8:9] offset1:4
	ds_write2_b64 v60, v[6:7], v[10:11] offset1:4
	;; [unrolled: 1-line block ×3, first 2 shown]
	s_and_saveexec_b64 s[4:5], vcc
	s_cbranch_execz .LBB0_37
; %bb.36:
	v_and_or_b32 v4, v58, s6, v59
	v_lshl_add_u32 v4, v4, 3, 0
	ds_write2_b64 v4, v[32:33], v[38:39] offset1:4
.LBB0_37:
	s_or_b64 exec, exec, s[4:5]
	v_add_u32_e32 v4, 0x1800, v54
	s_waitcnt lgkmcnt(0)
	s_barrier
	ds_read2_b64 v[8:11], v54 offset1:224
	ds_read2_b64 v[16:19], v4 offset0:16 offset1:240
	ds_read_b64 v[36:37], v54 offset:3584
	ds_read_b64 v[49:50], v54 offset:9856
	s_and_saveexec_b64 s[4:5], vcc
	s_cbranch_execz .LBB0_39
; %bb.38:
	ds_read_b64 v[32:33], v51 offset:5376
	ds_read_b64 v[38:39], v54 offset:11648
.LBB0_39:
	s_or_b64 exec, exec, s[4:5]
	v_and_b32_e32 v52, 7, v53
	v_lshlrev_b32_e32 v4, 4, v52
	global_load_dwordx4 v[20:23], v4, s[12:13] offset:96
	s_movk_i32 s4, 0x1f0
	s_movk_i32 s5, 0x3f0
	;; [unrolled: 1-line block ×3, first 2 shown]
	v_and_or_b32 v59, v55, s4, v52
	v_and_or_b32 v60, v56, s5, v52
	;; [unrolled: 1-line block ×3, first 2 shown]
	s_waitcnt vmcnt(0) lgkmcnt(0)
	s_barrier
	v_mul_f64 v[4:5], v[16:17], v[22:23]
	v_mul_f64 v[24:25], v[49:50], v[22:23]
	;; [unrolled: 1-line block ×4, first 2 shown]
	v_fma_f64 v[4:5], v[0:1], v[20:21], v[4:5]
	v_fma_f64 v[24:25], v[28:29], v[20:21], v[24:25]
	;; [unrolled: 1-line block ×4, first 2 shown]
	v_add_f64 v[4:5], v[12:13], -v[4:5]
	v_add_f64 v[45:46], v[47:48], -v[24:25]
	;; [unrolled: 1-line block ×4, first 2 shown]
	v_fma_f64 v[12:13], v[12:13], 2.0, -v[4:5]
	v_fma_f64 v[34:35], v[47:48], 2.0, -v[45:46]
	;; [unrolled: 1-line block ×4, first 2 shown]
	v_lshl_add_u32 v47, v59, 3, 0
	v_lshl_add_u32 v48, v60, 3, 0
	;; [unrolled: 1-line block ×3, first 2 shown]
	ds_write2_b64 v47, v[12:13], v[4:5] offset1:8
	ds_write2_b64 v48, v[14:15], v[6:7] offset1:8
	;; [unrolled: 1-line block ×3, first 2 shown]
	s_and_saveexec_b64 s[4:5], vcc
	s_cbranch_execz .LBB0_41
; %bb.40:
	v_and_or_b32 v4, v58, s6, v52
	v_lshl_add_u32 v4, v4, 3, 0
	ds_write2_b64 v4, v[30:31], v[24:25] offset1:8
.LBB0_41:
	s_or_b64 exec, exec, s[4:5]
	v_add_u32_e32 v4, 0x1800, v54
	s_waitcnt lgkmcnt(0)
	s_barrier
	ds_read2_b64 v[12:15], v54 offset1:224
	ds_read2_b64 v[4:7], v4 offset0:16 offset1:240
	ds_read_b64 v[45:46], v54 offset:3584
	ds_read_b64 v[34:35], v54 offset:9856
	s_and_saveexec_b64 s[4:5], vcc
	s_cbranch_execz .LBB0_43
; %bb.42:
	ds_read_b64 v[30:31], v51 offset:5376
	ds_read_b64 v[24:25], v54 offset:11648
.LBB0_43:
	s_or_b64 exec, exec, s[4:5]
	v_mul_f64 v[0:1], v[0:1], v[22:23]
	v_mul_f64 v[2:3], v[2:3], v[22:23]
	;; [unrolled: 1-line block ×4, first 2 shown]
	s_waitcnt lgkmcnt(0)
	s_barrier
	v_fma_f64 v[0:1], v[16:17], v[20:21], -v[0:1]
	v_fma_f64 v[2:3], v[18:19], v[20:21], -v[2:3]
	;; [unrolled: 1-line block ×4, first 2 shown]
	v_add_f64 v[0:1], v[8:9], -v[0:1]
	v_add_f64 v[2:3], v[10:11], -v[2:3]
	;; [unrolled: 1-line block ×4, first 2 shown]
	v_fma_f64 v[8:9], v[8:9], 2.0, -v[0:1]
	v_fma_f64 v[10:11], v[10:11], 2.0, -v[2:3]
	;; [unrolled: 1-line block ×4, first 2 shown]
	ds_write2_b64 v47, v[8:9], v[0:1] offset1:8
	ds_write2_b64 v48, v[10:11], v[2:3] offset1:8
	;; [unrolled: 1-line block ×3, first 2 shown]
	s_and_saveexec_b64 s[4:5], vcc
	s_cbranch_execz .LBB0_45
; %bb.44:
	v_and_or_b32 v0, v58, s6, v52
	v_lshl_add_u32 v0, v0, 3, 0
	ds_write2_b64 v0, v[22:23], v[20:21] offset1:8
.LBB0_45:
	s_or_b64 exec, exec, s[4:5]
	v_add_u32_e32 v0, 0x1800, v54
	s_waitcnt lgkmcnt(0)
	s_barrier
	ds_read2_b64 v[8:11], v54 offset1:224
	ds_read2_b64 v[0:3], v0 offset0:16 offset1:240
	ds_read_b64 v[26:27], v54 offset:3584
	ds_read_b64 v[28:29], v54 offset:9856
	s_and_saveexec_b64 s[4:5], vcc
	s_cbranch_execz .LBB0_47
; %bb.46:
	ds_read_b64 v[22:23], v51 offset:5376
	ds_read_b64 v[20:21], v54 offset:11648
.LBB0_47:
	s_or_b64 exec, exec, s[4:5]
	v_and_b32_e32 v32, 15, v53
	v_lshlrev_b32_e32 v16, 4, v32
	global_load_dwordx4 v[16:19], v16, s[12:13] offset:224
	s_movk_i32 s4, 0x1e0
	s_movk_i32 s5, 0x3e0
	v_and_or_b32 v33, v55, s4, v32
	s_movk_i32 s6, 0x7e0
	s_waitcnt vmcnt(0) lgkmcnt(0)
	s_barrier
	v_mul_f64 v[36:37], v[0:1], v[18:19]
	v_mul_f64 v[38:39], v[2:3], v[18:19]
	v_mul_f64 v[47:48], v[28:29], v[18:19]
	v_fma_f64 v[36:37], v[4:5], v[16:17], v[36:37]
	v_fma_f64 v[38:39], v[6:7], v[16:17], v[38:39]
	;; [unrolled: 1-line block ×3, first 2 shown]
	v_add_f64 v[49:50], v[12:13], -v[36:37]
	v_add_f64 v[37:38], v[14:15], -v[38:39]
	v_add_f64 v[47:48], v[45:46], -v[47:48]
	v_and_or_b32 v36, v56, s5, v32
	v_and_or_b32 v39, v57, s6, v32
	v_fma_f64 v[12:13], v[12:13], 2.0, -v[49:50]
	v_fma_f64 v[55:56], v[14:15], 2.0, -v[37:38]
	;; [unrolled: 1-line block ×3, first 2 shown]
	v_lshl_add_u32 v15, v33, 3, 0
	v_lshl_add_u32 v33, v36, 3, 0
	;; [unrolled: 1-line block ×3, first 2 shown]
	ds_write2_b64 v15, v[12:13], v[49:50] offset1:16
	ds_write2_b64 v33, v[55:56], v[37:38] offset1:16
	;; [unrolled: 1-line block ×3, first 2 shown]
	s_and_saveexec_b64 s[4:5], vcc
	s_cbranch_execz .LBB0_49
; %bb.48:
	v_mul_f64 v[12:13], v[20:21], v[18:19]
	v_and_or_b32 v14, v58, s6, v32
	v_lshl_add_u32 v14, v14, 3, 0
	v_fma_f64 v[12:13], v[24:25], v[16:17], v[12:13]
	v_add_f64 v[12:13], v[30:31], -v[12:13]
	v_fma_f64 v[30:31], v[30:31], 2.0, -v[12:13]
	ds_write2_b64 v14, v[30:31], v[12:13] offset1:16
.LBB0_49:
	s_or_b64 exec, exec, s[4:5]
	v_mul_f64 v[4:5], v[4:5], v[18:19]
	v_mul_f64 v[6:7], v[6:7], v[18:19]
	;; [unrolled: 1-line block ×3, first 2 shown]
	s_waitcnt lgkmcnt(0)
	s_barrier
	v_add_u32_e32 v14, 0x2300, v54
	v_fma_f64 v[0:1], v[0:1], v[16:17], -v[4:5]
	v_fma_f64 v[2:3], v[2:3], v[16:17], -v[6:7]
	;; [unrolled: 1-line block ×3, first 2 shown]
	v_add_f64 v[28:29], v[8:9], -v[0:1]
	v_add_f64 v[30:31], v[10:11], -v[2:3]
	;; [unrolled: 1-line block ×3, first 2 shown]
	ds_read2_b64 v[0:3], v54 offset1:224
	ds_read2st64_b64 v[4:7], v54 offset0:7 offset1:14
	ds_read_b64 v[12:13], v51 offset:5376
	v_fma_f64 v[37:38], v[8:9], 2.0, -v[28:29]
	v_fma_f64 v[45:46], v[10:11], 2.0, -v[30:31]
	;; [unrolled: 1-line block ×3, first 2 shown]
	ds_read2_b64 v[8:11], v14 offset1:224
	s_waitcnt lgkmcnt(0)
	s_barrier
	ds_write2_b64 v15, v[37:38], v[28:29] offset1:16
	ds_write2_b64 v33, v[45:46], v[30:31] offset1:16
	;; [unrolled: 1-line block ×3, first 2 shown]
	s_and_saveexec_b64 s[4:5], vcc
	s_cbranch_execz .LBB0_51
; %bb.50:
	v_mul_f64 v[18:19], v[24:25], v[18:19]
	v_fma_f64 v[15:16], v[20:21], v[16:17], -v[18:19]
	v_and_or_b32 v19, v58, s6, v32
	v_lshl_add_u32 v19, v19, 3, 0
	v_add_f64 v[15:16], v[22:23], -v[15:16]
	v_fma_f64 v[17:18], v[22:23], 2.0, -v[15:16]
	ds_write2_b64 v19, v[17:18], v[15:16] offset1:16
.LBB0_51:
	s_or_b64 exec, exec, s[4:5]
	v_and_b32_e32 v39, 31, v53
	v_mul_u32_u24_e32 v15, 6, v39
	v_lshlrev_b32_e32 v45, 4, v15
	s_waitcnt lgkmcnt(0)
	s_barrier
	global_load_dwordx4 v[15:18], v45, s[12:13] offset:512
	global_load_dwordx4 v[19:22], v45, s[12:13] offset:480
	;; [unrolled: 1-line block ×6, first 2 shown]
	ds_read_b64 v[49:50], v51 offset:5376
	ds_read2_b64 v[45:48], v54 offset1:224
	ds_read2st64_b64 v[55:58], v54 offset0:7 offset1:14
	s_mov_b32 s6, 0x37e14327
	s_mov_b32 s4, 0x36b3c0b5
	;; [unrolled: 1-line block ×20, first 2 shown]
	s_waitcnt vmcnt(5) lgkmcnt(2)
	v_mul_f64 v[59:60], v[49:50], v[17:18]
	v_mul_f64 v[17:18], v[12:13], v[17:18]
	v_fma_f64 v[12:13], v[12:13], v[15:16], v[59:60]
	v_fma_f64 v[15:16], v[49:50], v[15:16], -v[17:18]
	s_waitcnt vmcnt(4) lgkmcnt(1)
	v_mul_f64 v[17:18], v[47:48], v[21:22]
	v_mul_f64 v[21:22], v[2:3], v[21:22]
	s_waitcnt vmcnt(3) lgkmcnt(0)
	v_mul_f64 v[49:50], v[55:56], v[25:26]
	ds_read2_b64 v[59:62], v14 offset1:224
	s_waitcnt vmcnt(0) lgkmcnt(0)
	s_barrier
	v_fma_f64 v[2:3], v[2:3], v[19:20], v[17:18]
	v_fma_f64 v[17:18], v[47:48], v[19:20], -v[21:22]
	v_mul_f64 v[19:20], v[4:5], v[25:26]
	v_mul_f64 v[21:22], v[59:60], v[29:30]
	v_fma_f64 v[4:5], v[4:5], v[23:24], v[49:50]
	v_mul_f64 v[25:26], v[10:11], v[33:34]
	v_fma_f64 v[19:20], v[55:56], v[23:24], -v[19:20]
	v_mul_f64 v[23:24], v[61:62], v[33:34]
	v_fma_f64 v[21:22], v[8:9], v[27:28], v[21:22]
	v_mul_f64 v[8:9], v[8:9], v[29:30]
	v_fma_f64 v[25:26], v[61:62], v[31:32], -v[25:26]
	v_mul_f64 v[29:30], v[6:7], v[37:38]
	v_lshrrev_b32_e32 v33, 5, v53
	v_fma_f64 v[10:11], v[10:11], v[31:32], v[23:24]
	v_mul_f64 v[23:24], v[57:58], v[37:38]
	v_fma_f64 v[8:9], v[59:60], v[27:28], -v[8:9]
	v_mul_u32_u24_e32 v31, 0xe0, v33
	v_or_b32_e32 v39, v31, v39
	v_add_f64 v[27:28], v[2:3], v[10:11]
	v_fma_f64 v[6:7], v[6:7], v[35:36], v[23:24]
	v_fma_f64 v[23:24], v[57:58], v[35:36], -v[29:30]
	v_add_f64 v[29:30], v[17:18], v[25:26]
	v_add_f64 v[2:3], v[2:3], -v[10:11]
	v_add_f64 v[10:11], v[17:18], -v[25:26]
	v_add_f64 v[17:18], v[4:5], v[21:22]
	v_add_f64 v[25:26], v[19:20], v[8:9]
	v_add_f64 v[4:5], v[4:5], -v[21:22]
	v_add_f64 v[8:9], v[19:20], -v[8:9]
	v_add_f64 v[19:20], v[12:13], v[6:7]
	;; [unrolled: 4-line block ×3, first 2 shown]
	v_add_f64 v[23:24], v[25:26], v[29:30]
	v_add_f64 v[31:32], v[17:18], -v[27:28]
	v_add_f64 v[33:34], v[25:26], -v[29:30]
	;; [unrolled: 1-line block ×5, first 2 shown]
	v_add_f64 v[37:38], v[12:13], v[8:9]
	v_add_f64 v[49:50], v[12:13], -v[8:9]
	v_add_f64 v[8:9], v[8:9], -v[10:11]
	v_add_f64 v[15:16], v[19:20], v[15:16]
	v_add_f64 v[17:18], v[19:20], -v[17:18]
	v_add_f64 v[35:36], v[6:7], v[4:5]
	;; [unrolled: 2-line block ×3, first 2 shown]
	v_add_f64 v[12:13], v[10:11], -v[12:13]
	v_add_f64 v[4:5], v[4:5], -v[2:3]
	v_add_f64 v[10:11], v[37:38], v[10:11]
	v_mul_f64 v[21:22], v[27:28], s[6:7]
	v_mul_f64 v[23:24], v[29:30], s[6:7]
	v_mul_f64 v[29:30], v[25:26], s[4:5]
	v_mul_f64 v[37:38], v[49:50], s[16:17]
	v_mul_f64 v[49:50], v[8:9], s[8:9]
	v_add_f64 v[0:1], v[0:1], v[15:16]
	v_mul_f64 v[27:28], v[17:18], s[4:5]
	v_add_f64 v[6:7], v[2:3], -v[6:7]
	v_add_f64 v[2:3], v[35:36], v[2:3]
	v_mul_f64 v[35:36], v[47:48], s[16:17]
	v_add_f64 v[45:46], v[45:46], v[19:20]
	v_mul_f64 v[47:48], v[4:5], s[8:9]
	v_fma_f64 v[17:18], v[17:18], s[4:5], v[21:22]
	v_fma_f64 v[25:26], v[25:26], s[4:5], v[23:24]
	v_fma_f64 v[29:30], v[33:34], s[18:19], -v[29:30]
	v_fma_f64 v[23:24], v[33:34], s[20:21], -v[23:24]
	v_fma_f64 v[33:34], v[12:13], s[22:23], v[37:38]
	v_fma_f64 v[8:9], v[8:9], s[8:9], -v[37:38]
	v_fma_f64 v[12:13], v[12:13], s[24:25], -v[49:50]
	v_fma_f64 v[15:16], v[15:16], s[14:15], v[0:1]
	v_fma_f64 v[27:28], v[31:32], s[18:19], -v[27:28]
	v_fma_f64 v[21:22], v[31:32], s[20:21], -v[21:22]
	v_fma_f64 v[31:32], v[6:7], s[22:23], v[35:36]
	v_fma_f64 v[19:20], v[19:20], s[14:15], v[45:46]
	v_fma_f64 v[6:7], v[6:7], s[24:25], -v[47:48]
	v_fma_f64 v[4:5], v[4:5], s[8:9], -v[35:36]
	v_fma_f64 v[33:34], v[10:11], s[26:27], v[33:34]
	v_fma_f64 v[8:9], v[10:11], s[26:27], v[8:9]
	;; [unrolled: 1-line block ×3, first 2 shown]
	v_add_f64 v[12:13], v[17:18], v[15:16]
	v_add_f64 v[21:22], v[21:22], v[15:16]
	v_add_f64 v[15:16], v[27:28], v[15:16]
	v_fma_f64 v[31:32], v[2:3], s[26:27], v[31:32]
	v_add_f64 v[17:18], v[25:26], v[19:20]
	v_fma_f64 v[6:7], v[2:3], s[26:27], v[6:7]
	v_add_f64 v[23:24], v[23:24], v[19:20]
	;; [unrolled: 2-line block ×3, first 2 shown]
	v_add_f64 v[19:20], v[33:34], v[12:13]
	v_add_f64 v[27:28], v[10:11], v[21:22]
	v_add_f64 v[35:36], v[15:16], -v[8:9]
	v_add_f64 v[8:9], v[8:9], v[15:16]
	v_add_f64 v[10:11], v[21:22], -v[10:11]
	v_add_f64 v[12:13], v[12:13], -v[33:34]
	v_lshl_add_u32 v37, v39, 3, 0
	v_add_f64 v[25:26], v[17:18], -v[31:32]
	v_add_f64 v[29:30], v[23:24], -v[6:7]
	v_add_f64 v[15:16], v[2:3], v[4:5]
	v_add_f64 v[21:22], v[4:5], -v[2:3]
	v_add_f64 v[23:24], v[6:7], v[23:24]
	ds_write2_b64 v37, v[0:1], v[19:20] offset1:32
	ds_write2_b64 v37, v[27:28], v[35:36] offset0:64 offset1:96
	ds_write2_b64 v37, v[8:9], v[10:11] offset0:128 offset1:160
	ds_write_b64 v37, v[12:13] offset:1536
	s_waitcnt lgkmcnt(0)
	s_barrier
	ds_read2_b64 v[0:3], v54 offset1:224
	ds_read2st64_b64 v[8:11], v54 offset0:7 offset1:14
	ds_read_b64 v[12:13], v51 offset:5376
	ds_read2_b64 v[4:7], v14 offset1:224
	v_add_f64 v[17:18], v[31:32], v[17:18]
	s_waitcnt lgkmcnt(0)
	s_barrier
	ds_write2_b64 v37, v[45:46], v[25:26] offset1:32
	ds_write2_b64 v37, v[29:30], v[15:16] offset0:64 offset1:96
	ds_write2_b64 v37, v[21:22], v[23:24] offset0:128 offset1:160
	ds_write_b64 v37, v[17:18] offset:1536
	s_waitcnt lgkmcnt(0)
	s_barrier
	s_and_saveexec_b64 s[28:29], s[0:1]
	s_cbranch_execz .LBB0_53
; %bb.52:
	v_mul_u32_u24_e32 v14, 6, v53
	v_lshlrev_b32_e32 v38, 4, v14
	global_load_dwordx4 v[14:17], v38, s[12:13] offset:3600
	global_load_dwordx4 v[18:21], v38, s[12:13] offset:3568
	;; [unrolled: 1-line block ×6, first 2 shown]
	v_mul_lo_u32 v38, s3, v42
	v_mul_lo_u32 v39, s2, v43
	v_mad_u64_u32 v[42:43], s[0:1], s2, v42, 0
	ds_read2st64_b64 v[46:49], v54 offset0:7 offset1:14
	ds_read_b64 v[55:56], v51 offset:5376
	v_add_u32_e32 v59, 0x2300, v54
	v_add3_u32 v43, v43, v39, v38
	v_lshlrev_b64 v[42:43], 4, v[42:43]
	ds_read2_b64 v[50:53], v54 offset1:224
	v_mov_b32_e32 v54, s11
	v_lshlrev_b64 v[57:58], 4, v[40:41]
	v_add_co_u32_e32 v42, vcc, s10, v42
	v_mov_b32_e32 v45, 0
	v_addc_co_u32_e32 v43, vcc, v54, v43, vcc
	v_lshlrev_b64 v[44:45], 4, v[44:45]
	v_add_co_u32_e32 v42, vcc, v42, v57
	v_addc_co_u32_e32 v43, vcc, v43, v58, vcc
	v_add_co_u32_e32 v42, vcc, v42, v44
	v_addc_co_u32_e32 v43, vcc, v43, v45, vcc
	ds_read2_b64 v[38:41], v59 offset1:224
	s_movk_i32 s0, 0x1000
	v_add_co_u32_e32 v59, vcc, s0, v42
	s_movk_i32 s1, 0x2000
	v_addc_co_u32_e32 v60, vcc, 0, v43, vcc
	s_movk_i32 s2, 0x3000
	s_waitcnt vmcnt(5)
	v_mul_f64 v[44:45], v[10:11], v[14:15]
	v_mul_f64 v[10:11], v[10:11], v[16:17]
	s_waitcnt vmcnt(4)
	v_mul_f64 v[57:58], v[8:9], v[18:19]
	v_mul_f64 v[8:9], v[8:9], v[20:21]
	s_waitcnt lgkmcnt(3)
	v_fma_f64 v[16:17], v[48:49], v[16:17], v[44:45]
	v_fma_f64 v[10:11], v[48:49], v[14:15], -v[10:11]
	s_waitcnt vmcnt(3)
	v_mul_f64 v[14:15], v[12:13], v[22:23]
	s_waitcnt vmcnt(2)
	v_mul_f64 v[44:45], v[4:5], v[26:27]
	v_fma_f64 v[20:21], v[46:47], v[20:21], v[57:58]
	v_fma_f64 v[8:9], v[46:47], v[18:19], -v[8:9]
	s_waitcnt vmcnt(1)
	v_mul_f64 v[18:19], v[2:3], v[30:31]
	s_waitcnt vmcnt(0)
	v_mul_f64 v[46:47], v[6:7], v[34:35]
	v_mul_f64 v[4:5], v[4:5], v[28:29]
	;; [unrolled: 1-line block ×5, first 2 shown]
	s_waitcnt lgkmcnt(2)
	v_fma_f64 v[14:15], v[55:56], v[24:25], v[14:15]
	s_waitcnt lgkmcnt(0)
	v_fma_f64 v[24:25], v[38:39], v[28:29], v[44:45]
	v_fma_f64 v[18:19], v[52:53], v[32:33], v[18:19]
	;; [unrolled: 1-line block ×3, first 2 shown]
	v_fma_f64 v[4:5], v[38:39], v[26:27], -v[4:5]
	v_fma_f64 v[2:3], v[52:53], v[30:31], -v[2:3]
	;; [unrolled: 1-line block ×4, first 2 shown]
	v_add_f64 v[22:23], v[16:17], -v[14:15]
	v_add_f64 v[14:15], v[16:17], v[14:15]
	v_add_f64 v[16:17], v[20:21], v[24:25]
	v_add_f64 v[30:31], v[18:19], -v[28:29]
	v_add_f64 v[34:35], v[8:9], v[4:5]
	v_add_f64 v[18:19], v[18:19], v[28:29]
	;; [unrolled: 1-line block ×3, first 2 shown]
	v_add_f64 v[26:27], v[20:21], -v[24:25]
	v_add_f64 v[32:33], v[10:11], v[12:13]
	v_add_f64 v[10:11], v[10:11], -v[12:13]
	v_add_f64 v[4:5], v[8:9], -v[4:5]
	;; [unrolled: 1-line block ×4, first 2 shown]
	v_add_f64 v[40:41], v[16:17], v[18:19]
	v_add_f64 v[24:25], v[34:35], v[36:37]
	;; [unrolled: 1-line block ×3, first 2 shown]
	v_add_f64 v[8:9], v[22:23], -v[26:27]
	v_add_f64 v[20:21], v[32:33], -v[34:35]
	;; [unrolled: 1-line block ×5, first 2 shown]
	v_add_f64 v[44:45], v[10:11], v[4:5]
	v_add_f64 v[46:47], v[10:11], -v[4:5]
	v_add_f64 v[24:25], v[32:33], v[24:25]
	v_add_f64 v[14:15], v[14:15], v[40:41]
	v_add_f64 v[26:27], v[26:27], -v[30:31]
	v_add_f64 v[4:5], v[4:5], -v[2:3]
	;; [unrolled: 1-line block ×5, first 2 shown]
	v_mul_f64 v[8:9], v[8:9], s[16:17]
	v_mul_f64 v[18:19], v[20:21], s[4:5]
	;; [unrolled: 1-line block ×4, first 2 shown]
	v_add_f64 v[36:37], v[44:45], v[2:3]
	v_mul_f64 v[38:39], v[46:47], s[16:17]
	v_add_f64 v[2:3], v[50:51], v[24:25]
	v_add_f64 v[0:1], v[0:1], v[14:15]
	v_mul_f64 v[40:41], v[26:27], s[8:9]
	v_mul_f64 v[44:45], v[4:5], s[8:9]
	v_add_f64 v[6:7], v[6:7], v[30:31]
	v_mul_f64 v[30:31], v[28:29], s[4:5]
	v_fma_f64 v[46:47], v[12:13], s[22:23], v[8:9]
	v_fma_f64 v[20:21], v[20:21], s[4:5], v[22:23]
	;; [unrolled: 1-line block ×4, first 2 shown]
	v_fma_f64 v[22:23], v[34:35], s[20:21], -v[22:23]
	v_fma_f64 v[18:19], v[34:35], s[18:19], -v[18:19]
	;; [unrolled: 1-line block ×3, first 2 shown]
	v_fma_f64 v[24:25], v[24:25], s[14:15], v[2:3]
	v_fma_f64 v[14:15], v[14:15], s[14:15], v[0:1]
	v_fma_f64 v[12:13], v[12:13], s[24:25], -v[40:41]
	v_fma_f64 v[32:33], v[16:17], s[20:21], -v[32:33]
	;; [unrolled: 1-line block ×5, first 2 shown]
	v_fma_f64 v[26:27], v[6:7], s[26:27], v[46:47]
	v_fma_f64 v[30:31], v[36:37], s[26:27], v[50:51]
	;; [unrolled: 1-line block ×3, first 2 shown]
	v_add_f64 v[8:9], v[20:21], v[24:25]
	v_add_f64 v[20:21], v[18:19], v[24:25]
	;; [unrolled: 1-line block ×4, first 2 shown]
	v_fma_f64 v[34:35], v[6:7], s[26:27], v[12:13]
	v_fma_f64 v[38:39], v[36:37], s[26:27], v[10:11]
	v_add_f64 v[28:29], v[32:33], v[14:15]
	v_fma_f64 v[24:25], v[36:37], s[26:27], v[4:5]
	v_add_f64 v[32:33], v[16:17], v[14:15]
	v_add_f64 v[14:15], v[8:9], -v[26:27]
	global_store_dwordx4 v[42:43], v[0:3], off
	v_add_f64 v[12:13], v[30:31], v[22:23]
	v_add_f64 v[2:3], v[26:27], v[8:9]
	v_add_f64 v[10:11], v[18:19], -v[34:35]
	v_add_f64 v[8:9], v[38:39], v[28:29]
	v_add_f64 v[6:7], v[40:41], v[20:21]
	v_add_f64 v[4:5], v[32:33], -v[24:25]
	v_add_f64 v[0:1], v[22:23], -v[30:31]
	;; [unrolled: 1-line block ×3, first 2 shown]
	v_add_f64 v[20:21], v[24:25], v[32:33]
	v_add_f64 v[18:19], v[34:35], v[18:19]
	v_add_f64 v[16:17], v[28:29], -v[38:39]
	v_add_co_u32_e32 v48, vcc, s1, v42
	v_addc_co_u32_e32 v49, vcc, 0, v43, vcc
	global_store_dwordx4 v[42:43], v[12:15], off offset:3584
	global_store_dwordx4 v[59:60], v[8:11], off offset:3072
	;; [unrolled: 1-line block ×3, first 2 shown]
	s_nop 0
	v_add_co_u32_e32 v4, vcc, s2, v42
	v_addc_co_u32_e32 v5, vcc, 0, v43, vcc
	global_store_dwordx4 v[4:5], v[20:23], off offset:2048
	v_add_co_u32_e32 v4, vcc, 0x4000, v42
	v_addc_co_u32_e32 v5, vcc, 0, v43, vcc
	global_store_dwordx4 v[4:5], v[16:19], off offset:1536
	;; [unrolled: 3-line block ×3, first 2 shown]
.LBB0_53:
	s_endpgm
	.section	.rodata,"a",@progbits
	.p2align	6, 0x0
	.amdhsa_kernel fft_rtc_back_len1568_factors_2_2_2_2_2_7_7_wgs_224_tpt_224_halfLds_dp_op_CI_CI_unitstride_sbrr_dirReg
		.amdhsa_group_segment_fixed_size 0
		.amdhsa_private_segment_fixed_size 0
		.amdhsa_kernarg_size 104
		.amdhsa_user_sgpr_count 6
		.amdhsa_user_sgpr_private_segment_buffer 1
		.amdhsa_user_sgpr_dispatch_ptr 0
		.amdhsa_user_sgpr_queue_ptr 0
		.amdhsa_user_sgpr_kernarg_segment_ptr 1
		.amdhsa_user_sgpr_dispatch_id 0
		.amdhsa_user_sgpr_flat_scratch_init 0
		.amdhsa_user_sgpr_private_segment_size 0
		.amdhsa_uses_dynamic_stack 0
		.amdhsa_system_sgpr_private_segment_wavefront_offset 0
		.amdhsa_system_sgpr_workgroup_id_x 1
		.amdhsa_system_sgpr_workgroup_id_y 0
		.amdhsa_system_sgpr_workgroup_id_z 0
		.amdhsa_system_sgpr_workgroup_info 0
		.amdhsa_system_vgpr_workitem_id 0
		.amdhsa_next_free_vgpr 63
		.amdhsa_next_free_sgpr 30
		.amdhsa_reserve_vcc 1
		.amdhsa_reserve_flat_scratch 0
		.amdhsa_float_round_mode_32 0
		.amdhsa_float_round_mode_16_64 0
		.amdhsa_float_denorm_mode_32 3
		.amdhsa_float_denorm_mode_16_64 3
		.amdhsa_dx10_clamp 1
		.amdhsa_ieee_mode 1
		.amdhsa_fp16_overflow 0
		.amdhsa_exception_fp_ieee_invalid_op 0
		.amdhsa_exception_fp_denorm_src 0
		.amdhsa_exception_fp_ieee_div_zero 0
		.amdhsa_exception_fp_ieee_overflow 0
		.amdhsa_exception_fp_ieee_underflow 0
		.amdhsa_exception_fp_ieee_inexact 0
		.amdhsa_exception_int_div_zero 0
	.end_amdhsa_kernel
	.text
.Lfunc_end0:
	.size	fft_rtc_back_len1568_factors_2_2_2_2_2_7_7_wgs_224_tpt_224_halfLds_dp_op_CI_CI_unitstride_sbrr_dirReg, .Lfunc_end0-fft_rtc_back_len1568_factors_2_2_2_2_2_7_7_wgs_224_tpt_224_halfLds_dp_op_CI_CI_unitstride_sbrr_dirReg
                                        ; -- End function
	.section	.AMDGPU.csdata,"",@progbits
; Kernel info:
; codeLenInByte = 6752
; NumSgprs: 34
; NumVgprs: 63
; ScratchSize: 0
; MemoryBound: 1
; FloatMode: 240
; IeeeMode: 1
; LDSByteSize: 0 bytes/workgroup (compile time only)
; SGPRBlocks: 4
; VGPRBlocks: 15
; NumSGPRsForWavesPerEU: 34
; NumVGPRsForWavesPerEU: 63
; Occupancy: 4
; WaveLimiterHint : 1
; COMPUTE_PGM_RSRC2:SCRATCH_EN: 0
; COMPUTE_PGM_RSRC2:USER_SGPR: 6
; COMPUTE_PGM_RSRC2:TRAP_HANDLER: 0
; COMPUTE_PGM_RSRC2:TGID_X_EN: 1
; COMPUTE_PGM_RSRC2:TGID_Y_EN: 0
; COMPUTE_PGM_RSRC2:TGID_Z_EN: 0
; COMPUTE_PGM_RSRC2:TIDIG_COMP_CNT: 0
	.type	__hip_cuid_d7812f9f97c4b446,@object ; @__hip_cuid_d7812f9f97c4b446
	.section	.bss,"aw",@nobits
	.globl	__hip_cuid_d7812f9f97c4b446
__hip_cuid_d7812f9f97c4b446:
	.byte	0                               ; 0x0
	.size	__hip_cuid_d7812f9f97c4b446, 1

	.ident	"AMD clang version 19.0.0git (https://github.com/RadeonOpenCompute/llvm-project roc-6.4.0 25133 c7fe45cf4b819c5991fe208aaa96edf142730f1d)"
	.section	".note.GNU-stack","",@progbits
	.addrsig
	.addrsig_sym __hip_cuid_d7812f9f97c4b446
	.amdgpu_metadata
---
amdhsa.kernels:
  - .args:
      - .actual_access:  read_only
        .address_space:  global
        .offset:         0
        .size:           8
        .value_kind:     global_buffer
      - .offset:         8
        .size:           8
        .value_kind:     by_value
      - .actual_access:  read_only
        .address_space:  global
        .offset:         16
        .size:           8
        .value_kind:     global_buffer
      - .actual_access:  read_only
        .address_space:  global
        .offset:         24
        .size:           8
        .value_kind:     global_buffer
      - .actual_access:  read_only
        .address_space:  global
        .offset:         32
        .size:           8
        .value_kind:     global_buffer
      - .offset:         40
        .size:           8
        .value_kind:     by_value
      - .actual_access:  read_only
        .address_space:  global
        .offset:         48
        .size:           8
        .value_kind:     global_buffer
      - .actual_access:  read_only
        .address_space:  global
        .offset:         56
        .size:           8
        .value_kind:     global_buffer
      - .offset:         64
        .size:           4
        .value_kind:     by_value
      - .actual_access:  read_only
        .address_space:  global
        .offset:         72
        .size:           8
        .value_kind:     global_buffer
      - .actual_access:  read_only
        .address_space:  global
        .offset:         80
        .size:           8
        .value_kind:     global_buffer
      - .actual_access:  read_only
        .address_space:  global
        .offset:         88
        .size:           8
        .value_kind:     global_buffer
      - .actual_access:  write_only
        .address_space:  global
        .offset:         96
        .size:           8
        .value_kind:     global_buffer
    .group_segment_fixed_size: 0
    .kernarg_segment_align: 8
    .kernarg_segment_size: 104
    .language:       OpenCL C
    .language_version:
      - 2
      - 0
    .max_flat_workgroup_size: 224
    .name:           fft_rtc_back_len1568_factors_2_2_2_2_2_7_7_wgs_224_tpt_224_halfLds_dp_op_CI_CI_unitstride_sbrr_dirReg
    .private_segment_fixed_size: 0
    .sgpr_count:     34
    .sgpr_spill_count: 0
    .symbol:         fft_rtc_back_len1568_factors_2_2_2_2_2_7_7_wgs_224_tpt_224_halfLds_dp_op_CI_CI_unitstride_sbrr_dirReg.kd
    .uniform_work_group_size: 1
    .uses_dynamic_stack: false
    .vgpr_count:     63
    .vgpr_spill_count: 0
    .wavefront_size: 64
amdhsa.target:   amdgcn-amd-amdhsa--gfx906
amdhsa.version:
  - 1
  - 2
...

	.end_amdgpu_metadata
